;; amdgpu-corpus repo=ROCm/rocFFT kind=compiled arch=gfx1030 opt=O3
	.text
	.amdgcn_target "amdgcn-amd-amdhsa--gfx1030"
	.amdhsa_code_object_version 6
	.protected	fft_rtc_back_len312_factors_13_4_3_2_wgs_52_tpt_26_half_ip_CI_sbrr_dirReg ; -- Begin function fft_rtc_back_len312_factors_13_4_3_2_wgs_52_tpt_26_half_ip_CI_sbrr_dirReg
	.globl	fft_rtc_back_len312_factors_13_4_3_2_wgs_52_tpt_26_half_ip_CI_sbrr_dirReg
	.p2align	8
	.type	fft_rtc_back_len312_factors_13_4_3_2_wgs_52_tpt_26_half_ip_CI_sbrr_dirReg,@function
fft_rtc_back_len312_factors_13_4_3_2_wgs_52_tpt_26_half_ip_CI_sbrr_dirReg: ; @fft_rtc_back_len312_factors_13_4_3_2_wgs_52_tpt_26_half_ip_CI_sbrr_dirReg
; %bb.0:
	s_clause 0x2
	s_load_dwordx2 s[14:15], s[4:5], 0x18
	s_load_dwordx4 s[8:11], s[4:5], 0x0
	s_load_dwordx2 s[12:13], s[4:5], 0x50
	v_mul_u32_u24_e32 v1, 0x9d9, v0
	v_mov_b32_e32 v3, 0
	v_lshrrev_b32_e32 v15, 16, v1
	v_mov_b32_e32 v1, 0
	v_mov_b32_e32 v6, v3
	v_mov_b32_e32 v2, 0
	v_lshl_add_u32 v5, s6, 1, v15
	s_waitcnt lgkmcnt(0)
	s_load_dwordx2 s[2:3], s[14:15], 0x0
	v_cmp_lt_u64_e64 s0, s[10:11], 2
	s_and_b32 vcc_lo, exec_lo, s0
	s_cbranch_vccnz .LBB0_8
; %bb.1:
	s_load_dwordx2 s[0:1], s[4:5], 0x10
	v_mov_b32_e32 v1, 0
	s_add_u32 s6, s14, 8
	v_mov_b32_e32 v2, 0
	s_addc_u32 s7, s15, 0
	s_mov_b64 s[18:19], 1
	s_waitcnt lgkmcnt(0)
	s_add_u32 s16, s0, 8
	s_addc_u32 s17, s1, 0
.LBB0_2:                                ; =>This Inner Loop Header: Depth=1
	s_load_dwordx2 s[20:21], s[16:17], 0x0
                                        ; implicit-def: $vgpr7_vgpr8
	s_mov_b32 s0, exec_lo
	s_waitcnt lgkmcnt(0)
	v_or_b32_e32 v4, s21, v6
	v_cmpx_ne_u64_e32 0, v[3:4]
	s_xor_b32 s1, exec_lo, s0
	s_cbranch_execz .LBB0_4
; %bb.3:                                ;   in Loop: Header=BB0_2 Depth=1
	v_cvt_f32_u32_e32 v4, s20
	v_cvt_f32_u32_e32 v7, s21
	s_sub_u32 s0, 0, s20
	s_subb_u32 s22, 0, s21
	v_fmac_f32_e32 v4, 0x4f800000, v7
	v_rcp_f32_e32 v4, v4
	v_mul_f32_e32 v4, 0x5f7ffffc, v4
	v_mul_f32_e32 v7, 0x2f800000, v4
	v_trunc_f32_e32 v7, v7
	v_fmac_f32_e32 v4, 0xcf800000, v7
	v_cvt_u32_f32_e32 v7, v7
	v_cvt_u32_f32_e32 v4, v4
	v_mul_lo_u32 v8, s0, v7
	v_mul_hi_u32 v9, s0, v4
	v_mul_lo_u32 v10, s22, v4
	v_add_nc_u32_e32 v8, v9, v8
	v_mul_lo_u32 v9, s0, v4
	v_add_nc_u32_e32 v8, v8, v10
	v_mul_hi_u32 v10, v4, v9
	v_mul_lo_u32 v11, v4, v8
	v_mul_hi_u32 v12, v4, v8
	v_mul_hi_u32 v13, v7, v9
	v_mul_lo_u32 v9, v7, v9
	v_mul_hi_u32 v14, v7, v8
	v_mul_lo_u32 v8, v7, v8
	v_add_co_u32 v10, vcc_lo, v10, v11
	v_add_co_ci_u32_e32 v11, vcc_lo, 0, v12, vcc_lo
	v_add_co_u32 v9, vcc_lo, v10, v9
	v_add_co_ci_u32_e32 v9, vcc_lo, v11, v13, vcc_lo
	v_add_co_ci_u32_e32 v10, vcc_lo, 0, v14, vcc_lo
	v_add_co_u32 v8, vcc_lo, v9, v8
	v_add_co_ci_u32_e32 v9, vcc_lo, 0, v10, vcc_lo
	v_add_co_u32 v4, vcc_lo, v4, v8
	v_add_co_ci_u32_e32 v7, vcc_lo, v7, v9, vcc_lo
	v_mul_hi_u32 v8, s0, v4
	v_mul_lo_u32 v10, s22, v4
	v_mul_lo_u32 v9, s0, v7
	v_add_nc_u32_e32 v8, v8, v9
	v_mul_lo_u32 v9, s0, v4
	v_add_nc_u32_e32 v8, v8, v10
	v_mul_hi_u32 v10, v4, v9
	v_mul_lo_u32 v11, v4, v8
	v_mul_hi_u32 v12, v4, v8
	v_mul_hi_u32 v13, v7, v9
	v_mul_lo_u32 v9, v7, v9
	v_mul_hi_u32 v14, v7, v8
	v_mul_lo_u32 v8, v7, v8
	v_add_co_u32 v10, vcc_lo, v10, v11
	v_add_co_ci_u32_e32 v11, vcc_lo, 0, v12, vcc_lo
	v_add_co_u32 v9, vcc_lo, v10, v9
	v_add_co_ci_u32_e32 v9, vcc_lo, v11, v13, vcc_lo
	v_add_co_ci_u32_e32 v10, vcc_lo, 0, v14, vcc_lo
	v_add_co_u32 v8, vcc_lo, v9, v8
	v_add_co_ci_u32_e32 v9, vcc_lo, 0, v10, vcc_lo
	v_add_co_u32 v4, vcc_lo, v4, v8
	v_add_co_ci_u32_e32 v11, vcc_lo, v7, v9, vcc_lo
	v_mul_hi_u32 v13, v5, v4
	v_mad_u64_u32 v[9:10], null, v6, v4, 0
	v_mad_u64_u32 v[7:8], null, v5, v11, 0
	;; [unrolled: 1-line block ×3, first 2 shown]
	v_add_co_u32 v4, vcc_lo, v13, v7
	v_add_co_ci_u32_e32 v7, vcc_lo, 0, v8, vcc_lo
	v_add_co_u32 v4, vcc_lo, v4, v9
	v_add_co_ci_u32_e32 v4, vcc_lo, v7, v10, vcc_lo
	v_add_co_ci_u32_e32 v7, vcc_lo, 0, v12, vcc_lo
	v_add_co_u32 v4, vcc_lo, v4, v11
	v_add_co_ci_u32_e32 v9, vcc_lo, 0, v7, vcc_lo
	v_mul_lo_u32 v10, s21, v4
	v_mad_u64_u32 v[7:8], null, s20, v4, 0
	v_mul_lo_u32 v11, s20, v9
	v_sub_co_u32 v7, vcc_lo, v5, v7
	v_add3_u32 v8, v8, v11, v10
	v_sub_nc_u32_e32 v10, v6, v8
	v_subrev_co_ci_u32_e64 v10, s0, s21, v10, vcc_lo
	v_add_co_u32 v11, s0, v4, 2
	v_add_co_ci_u32_e64 v12, s0, 0, v9, s0
	v_sub_co_u32 v13, s0, v7, s20
	v_sub_co_ci_u32_e32 v8, vcc_lo, v6, v8, vcc_lo
	v_subrev_co_ci_u32_e64 v10, s0, 0, v10, s0
	v_cmp_le_u32_e32 vcc_lo, s20, v13
	v_cmp_eq_u32_e64 s0, s21, v8
	v_cndmask_b32_e64 v13, 0, -1, vcc_lo
	v_cmp_le_u32_e32 vcc_lo, s21, v10
	v_cndmask_b32_e64 v14, 0, -1, vcc_lo
	v_cmp_le_u32_e32 vcc_lo, s20, v7
	;; [unrolled: 2-line block ×3, first 2 shown]
	v_cndmask_b32_e64 v16, 0, -1, vcc_lo
	v_cmp_eq_u32_e32 vcc_lo, s21, v10
	v_cndmask_b32_e64 v7, v16, v7, s0
	v_cndmask_b32_e32 v10, v14, v13, vcc_lo
	v_add_co_u32 v13, vcc_lo, v4, 1
	v_add_co_ci_u32_e32 v14, vcc_lo, 0, v9, vcc_lo
	v_cmp_ne_u32_e32 vcc_lo, 0, v10
	v_cndmask_b32_e32 v8, v14, v12, vcc_lo
	v_cndmask_b32_e32 v10, v13, v11, vcc_lo
	v_cmp_ne_u32_e32 vcc_lo, 0, v7
	v_cndmask_b32_e32 v8, v9, v8, vcc_lo
	v_cndmask_b32_e32 v7, v4, v10, vcc_lo
.LBB0_4:                                ;   in Loop: Header=BB0_2 Depth=1
	s_andn2_saveexec_b32 s0, s1
	s_cbranch_execz .LBB0_6
; %bb.5:                                ;   in Loop: Header=BB0_2 Depth=1
	v_cvt_f32_u32_e32 v4, s20
	s_sub_i32 s1, 0, s20
	v_rcp_iflag_f32_e32 v4, v4
	v_mul_f32_e32 v4, 0x4f7ffffe, v4
	v_cvt_u32_f32_e32 v4, v4
	v_mul_lo_u32 v7, s1, v4
	v_mul_hi_u32 v7, v4, v7
	v_add_nc_u32_e32 v4, v4, v7
	v_mul_hi_u32 v4, v5, v4
	v_mul_lo_u32 v7, v4, s20
	v_add_nc_u32_e32 v8, 1, v4
	v_sub_nc_u32_e32 v7, v5, v7
	v_subrev_nc_u32_e32 v9, s20, v7
	v_cmp_le_u32_e32 vcc_lo, s20, v7
	v_cndmask_b32_e32 v7, v7, v9, vcc_lo
	v_cndmask_b32_e32 v4, v4, v8, vcc_lo
	v_cmp_le_u32_e32 vcc_lo, s20, v7
	v_add_nc_u32_e32 v8, 1, v4
	v_cndmask_b32_e32 v7, v4, v8, vcc_lo
	v_mov_b32_e32 v8, v3
.LBB0_6:                                ;   in Loop: Header=BB0_2 Depth=1
	s_or_b32 exec_lo, exec_lo, s0
	s_load_dwordx2 s[0:1], s[6:7], 0x0
	v_mul_lo_u32 v4, v8, s20
	v_mul_lo_u32 v11, v7, s21
	v_mad_u64_u32 v[9:10], null, v7, s20, 0
	s_add_u32 s18, s18, 1
	s_addc_u32 s19, s19, 0
	s_add_u32 s6, s6, 8
	s_addc_u32 s7, s7, 0
	s_add_u32 s16, s16, 8
	s_addc_u32 s17, s17, 0
	v_add3_u32 v4, v10, v11, v4
	v_sub_co_u32 v5, vcc_lo, v5, v9
	v_sub_co_ci_u32_e32 v4, vcc_lo, v6, v4, vcc_lo
	s_waitcnt lgkmcnt(0)
	v_mul_lo_u32 v6, s1, v5
	v_mul_lo_u32 v4, s0, v4
	v_mad_u64_u32 v[1:2], null, s0, v5, v[1:2]
	v_cmp_ge_u64_e64 s0, s[18:19], s[10:11]
	s_and_b32 vcc_lo, exec_lo, s0
	v_add3_u32 v2, v6, v2, v4
	s_cbranch_vccnz .LBB0_9
; %bb.7:                                ;   in Loop: Header=BB0_2 Depth=1
	v_mov_b32_e32 v5, v7
	v_mov_b32_e32 v6, v8
	s_branch .LBB0_2
.LBB0_8:
	v_mov_b32_e32 v8, v6
	v_mov_b32_e32 v7, v5
.LBB0_9:
	s_lshl_b64 s[0:1], s[10:11], 3
	v_mul_hi_u32 v3, 0x9d89d8a, v0
	s_add_u32 s0, s14, s0
	s_addc_u32 s1, s15, s1
                                        ; implicit-def: $vgpr11
                                        ; implicit-def: $vgpr10
                                        ; implicit-def: $vgpr12
                                        ; implicit-def: $vgpr9
                                        ; implicit-def: $vgpr13
                                        ; implicit-def: $vgpr14
                                        ; implicit-def: $vgpr18
                                        ; implicit-def: $vgpr6
                                        ; implicit-def: $vgpr21
	s_load_dwordx2 s[0:1], s[0:1], 0x0
	s_load_dwordx2 s[4:5], s[4:5], 0x20
	v_mul_u32_u24_e32 v3, 26, v3
	v_sub_nc_u32_e32 v0, v0, v3
	s_waitcnt lgkmcnt(0)
	v_mul_lo_u32 v4, s0, v8
	v_mul_lo_u32 v5, s1, v7
	v_mad_u64_u32 v[1:2], null, s0, v7, v[1:2]
	v_cmp_gt_u64_e32 vcc_lo, s[4:5], v[7:8]
	v_cmp_gt_u32_e64 s0, 24, v0
                                        ; implicit-def: $vgpr8
                                        ; implicit-def: $vgpr7
	s_and_b32 s1, vcc_lo, s0
	v_add3_u32 v2, v5, v2, v4
	v_mov_b32_e32 v5, 0
                                        ; implicit-def: $vgpr4
	v_lshlrev_b64 v[2:3], 2, v[1:2]
	s_and_saveexec_b32 s4, s1
	s_cbranch_execz .LBB0_11
; %bb.10:
	v_add_nc_u32_e32 v10, 24, v0
	v_mad_u64_u32 v[4:5], null, s2, v0, 0
	v_add_nc_u32_e32 v13, 48, v0
	v_add_nc_u32_e32 v16, 0x48, v0
	v_mad_u64_u32 v[6:7], null, s2, v10, 0
	v_add_nc_u32_e32 v20, 0x78, v0
	v_add_nc_u32_e32 v23, 0x90, v0
	v_mov_b32_e32 v1, v5
	v_add_nc_u32_e32 v24, 0xa8, v0
	v_add_co_u32 v37, s1, s12, v2
	v_mov_b32_e32 v5, v7
	v_mad_u64_u32 v[7:8], null, s3, v0, v[1:2]
	v_mad_u64_u32 v[8:9], null, s2, v13, 0
	;; [unrolled: 1-line block ×4, first 2 shown]
	v_mov_b32_e32 v5, v7
	v_add_co_ci_u32_e64 v38, s1, s13, v3, s1
	v_mov_b32_e32 v1, v9
	v_mov_b32_e32 v7, v10
	v_lshlrev_b64 v[4:5], 2, v[4:5]
	v_add_nc_u32_e32 v32, 0xf0, v0
	v_mad_u64_u32 v[9:10], null, s3, v13, v[1:2]
	v_or_b32_e32 v10, 0x60, v0
	v_mov_b32_e32 v1, v12
	v_lshlrev_b64 v[6:7], 2, v[6:7]
	v_add_co_u32 v4, s1, v37, v4
	v_mad_u64_u32 v[13:14], null, s2, v10, 0
	v_mad_u64_u32 v[16:17], null, s3, v16, v[1:2]
	v_lshlrev_b64 v[8:9], 2, v[8:9]
	v_add_co_ci_u32_e64 v5, s1, v38, v5, s1
	v_add_co_u32 v6, s1, v37, v6
	v_mov_b32_e32 v1, v14
	v_mov_b32_e32 v12, v16
	v_mad_u64_u32 v[16:17], null, s2, v20, 0
	v_add_co_ci_u32_e64 v7, s1, v38, v7, s1
	v_mad_u64_u32 v[18:19], null, s3, v10, v[1:2]
	v_lshlrev_b64 v[10:11], 2, v[11:12]
	v_add_co_u32 v8, s1, v37, v8
	v_mov_b32_e32 v1, v17
	v_add_co_ci_u32_e64 v9, s1, v38, v9, s1
	v_mov_b32_e32 v14, v18
	v_mad_u64_u32 v[18:19], null, s2, v23, 0
	v_mad_u64_u32 v[20:21], null, s3, v20, v[1:2]
	;; [unrolled: 1-line block ×3, first 2 shown]
	v_lshlrev_b64 v[12:13], 2, v[13:14]
	v_or_b32_e32 v14, 0xc0, v0
	v_mov_b32_e32 v1, v19
	v_add_co_u32 v10, s1, v37, v10
	v_mov_b32_e32 v17, v20
	v_add_co_ci_u32_e64 v11, s1, v38, v11, s1
	v_mad_u64_u32 v[19:20], null, s3, v23, v[1:2]
	v_mov_b32_e32 v1, v22
	v_add_nc_u32_e32 v20, 0xd8, v0
	v_lshlrev_b64 v[16:17], 2, v[16:17]
	v_add_co_u32 v12, s1, v37, v12
	v_mad_u64_u32 v[22:23], null, s3, v24, v[1:2]
	v_mad_u64_u32 v[23:24], null, s2, v14, 0
	;; [unrolled: 1-line block ×3, first 2 shown]
	v_lshlrev_b64 v[18:19], 2, v[18:19]
	v_add_co_ci_u32_e64 v13, s1, v38, v13, s1
	v_add_co_u32 v16, s1, v37, v16
	v_mov_b32_e32 v1, v24
	v_add_co_ci_u32_e64 v17, s1, v38, v17, s1
	v_add_co_u32 v30, s1, v37, v18
	v_mad_u64_u32 v[27:28], null, s3, v14, v[1:2]
	v_mad_u64_u32 v[28:29], null, s2, v32, 0
	v_mov_b32_e32 v1, v26
	v_add_nc_u32_e32 v14, 0x108, v0
	v_add_co_ci_u32_e64 v31, s1, v38, v19, s1
	v_lshlrev_b64 v[18:19], 2, v[21:22]
	v_mad_u64_u32 v[20:21], null, s3, v20, v[1:2]
	v_mov_b32_e32 v1, v29
	v_mov_b32_e32 v24, v27
	v_or_b32_e32 v27, 0x120, v0
	v_mad_u64_u32 v[21:22], null, s2, v14, 0
	v_mad_u64_u32 v[32:33], null, s3, v32, v[1:2]
	;; [unrolled: 1-line block ×3, first 2 shown]
	v_add_co_u32 v35, s1, v37, v18
	v_mov_b32_e32 v1, v22
	v_add_co_ci_u32_e64 v36, s1, v38, v19, s1
	v_lshlrev_b64 v[18:19], 2, v[23:24]
	v_mov_b32_e32 v26, v20
	v_mad_u64_u32 v[22:23], null, s3, v14, v[1:2]
	v_mov_b32_e32 v1, v34
	v_mov_b32_e32 v29, v32
	v_add_co_u32 v23, s1, v37, v18
	v_add_co_ci_u32_e64 v24, s1, v38, v19, s1
	v_lshlrev_b64 v[18:19], 2, v[25:26]
	v_mad_u64_u32 v[25:26], null, s3, v27, v[1:2]
	v_lshlrev_b64 v[26:27], 2, v[28:29]
	v_add_co_u32 v28, s1, v37, v18
	v_add_co_ci_u32_e64 v29, s1, v38, v19, s1
	v_mov_b32_e32 v34, v25
	v_lshlrev_b64 v[18:19], 2, v[21:22]
	v_add_co_u32 v25, s1, v37, v26
	v_add_co_ci_u32_e64 v26, s1, v38, v27, s1
	v_lshlrev_b64 v[20:21], 2, v[33:34]
	v_add_co_u32 v32, s1, v37, v18
	v_add_co_ci_u32_e64 v33, s1, v38, v19, s1
	v_add_co_u32 v19, s1, v37, v20
	v_add_co_ci_u32_e64 v20, s1, v38, v21, s1
	s_clause 0xc
	global_load_dword v5, v[4:5], off
	global_load_dword v21, v[6:7], off
	global_load_dword v18, v[8:9], off
	global_load_dword v14, v[10:11], off
	global_load_dword v13, v[12:13], off
	global_load_dword v12, v[16:17], off
	global_load_dword v11, v[30:31], off
	global_load_dword v10, v[35:36], off
	global_load_dword v9, v[23:24], off
	global_load_dword v8, v[28:29], off
	global_load_dword v7, v[25:26], off
	global_load_dword v6, v[32:33], off
	global_load_dword v4, v[19:20], off
.LBB0_11:
	s_or_b32 exec_lo, exec_lo, s4
	v_and_b32_e32 v1, 1, v15
	v_cmp_eq_u32_e64 s1, 1, v1
	v_cndmask_b32_e64 v1, 0, 0x138, s1
	v_lshlrev_b32_e32 v1, 2, v1
	s_and_saveexec_b32 s1, s0
	s_cbranch_execz .LBB0_13
; %bb.12:
	s_waitcnt vmcnt(0)
	v_pk_add_f16 v24, v21, v4 neg_lo:[0,1] neg_hi:[0,1]
	v_pk_add_f16 v15, v21, v4
	v_pk_add_f16 v23, v18, v6 neg_lo:[0,1] neg_hi:[0,1]
	v_pk_add_f16 v16, v18, v6
	v_pk_add_f16 v20, v14, v7 neg_lo:[0,1] neg_hi:[0,1]
	v_mul_f16_e32 v38, 0xba95, v24
	v_lshrrev_b32_e32 v36, 16, v15
	v_mul_f16_e32 v39, 0xbb7b, v23
	v_lshrrev_b32_e32 v30, 16, v16
	v_pk_add_f16 v17, v14, v7
	v_mul_f16_e32 v40, 0xb3a8, v20
	v_fmamk_f16 v25, v36, 0x388b, v38
	v_pk_add_f16 v22, v13, v8 neg_lo:[0,1] neg_hi:[0,1]
	v_fmamk_f16 v26, v30, 0xb5ac, v39
	v_pk_add_f16 v19, v13, v8
	v_lshrrev_b32_e32 v32, 16, v17
	v_add_f16_sdwa v25, v5, v25 dst_sel:DWORD dst_unused:UNUSED_PAD src0_sel:WORD_1 src1_sel:DWORD
	v_mul_f16_e32 v41, 0x394e, v22
	v_mul_f16_e32 v42, 0x388b, v15
	v_lshrrev_b32_e32 v31, 16, v19
	v_fmamk_f16 v27, v32, 0xbbc4, v40
	v_add_f16_e32 v26, v26, v25
	v_lshrrev_b32_e32 v43, 16, v24
	v_pk_add_f16 v25, v12, v9 neg_lo:[0,1] neg_hi:[0,1]
	v_fmamk_f16 v28, v31, 0xb9fd, v41
	v_mul_f16_e32 v44, 0xb5ac, v16
	v_add_f16_e32 v26, v27, v26
	v_fmamk_f16 v27, v43, 0x3a95, v42
	v_mul_f16_e32 v46, 0x3bf1, v25
	v_lshrrev_b32_e32 v45, 16, v23
	v_mul_f16_e32 v47, 0xbbc4, v17
	v_add_f16_e32 v29, v28, v26
	v_pk_add_f16 v26, v12, v9
	v_add_f16_e32 v33, v5, v27
	v_pk_add_f16 v28, v11, v10 neg_lo:[0,1] neg_hi:[0,1]
	v_pk_add_f16 v27, v11, v10
	v_fmamk_f16 v34, v45, 0x3b7b, v44
	v_lshrrev_b32_e32 v35, 16, v26
	v_lshrrev_b32_e32 v48, 16, v20
	v_mul_f16_e32 v52, 0x3770, v28
	v_lshrrev_b32_e32 v37, 16, v27
	v_add_f16_e32 v33, v34, v33
	v_fmamk_f16 v51, v35, 0x2fb7, v46
	v_fmamk_f16 v34, v48, 0x33a8, v47
	v_mul_f16_e32 v49, 0xb9fd, v19
	v_lshrrev_b32_e32 v50, 16, v22
	v_mul_f16_e32 v63, 0xbbc4, v16
	v_add_f16_e32 v29, v51, v29
	v_fmamk_f16 v51, v37, 0x3b15, v52
	v_add_f16_e32 v33, v34, v33
	v_fmamk_f16 v34, v50, 0xb94e, v49
	v_mul_f16_e32 v53, 0x2fb7, v26
	v_lshrrev_b32_e32 v54, 16, v25
	v_add_f16_e32 v29, v51, v29
	v_mul_f16_e32 v51, 0x2fb7, v15
	v_mul_f16_e32 v55, 0xbbf1, v24
	v_fmamk_f16 v65, v45, 0x33a8, v63
	v_mul_f16_e32 v66, 0xb5ac, v17
	v_add_f16_e32 v33, v34, v33
	v_fmamk_f16 v62, v43, 0x3bf1, v51
	v_fmamk_f16 v34, v54, 0xbbf1, v53
	v_mul_f16_e32 v56, 0x3b15, v27
	v_lshrrev_b32_e32 v57, 16, v28
	v_fmamk_f16 v58, v36, 0x2fb7, v55
	v_add_f16_e32 v62, v5, v62
	v_mul_f16_e32 v59, 0xb3a8, v23
	v_mul_f16_e32 v68, 0x3b15, v19
	v_add_f16_e32 v33, v34, v33
	v_add_f16_sdwa v34, v5, v58 dst_sel:DWORD dst_unused:UNUSED_PAD src0_sel:WORD_1 src1_sel:DWORD
	v_add_f16_e32 v62, v65, v62
	v_fmamk_f16 v65, v48, 0xbb7b, v66
	v_fmamk_f16 v58, v30, 0xbbc4, v59
	v_mul_f16_e32 v60, 0x3b7b, v20
	v_fmamk_f16 v61, v57, 0xb770, v56
	v_mul_f16_e32 v70, 0x388b, v26
	v_add_f16_e32 v62, v65, v62
	v_fmamk_f16 v65, v50, 0xb770, v68
	v_add_f16_e32 v34, v58, v34
	v_fmamk_f16 v58, v32, 0xb5ac, v60
	v_mul_f16_e32 v64, 0x3770, v22
	v_add_f16_e32 v33, v61, v33
	v_add_f16_e32 v61, v65, v62
	v_fmamk_f16 v62, v54, 0x3a95, v70
	v_mul_f16_e32 v65, 0xbb7b, v24
	v_add_f16_e32 v34, v58, v34
	v_fmamk_f16 v58, v31, 0x3b15, v64
	v_mul_f16_e32 v67, 0xba95, v25
	v_mul_f16_e32 v71, 0xb5ac, v15
	v_add_f16_e32 v61, v62, v61
	v_fmamk_f16 v62, v36, 0xb5ac, v65
	v_mul_f16_e32 v72, 0x394e, v23
	v_fma_f16 v38, v36, 0x388b, -v38
	v_add_f16_e32 v34, v58, v34
	v_fmamk_f16 v58, v35, 0x388b, v67
	v_mul_f16_e32 v69, 0xb94e, v28
	v_fmamk_f16 v74, v43, 0x3b7b, v71
	v_mul_f16_e32 v75, 0xb9fd, v16
	v_add_f16_sdwa v62, v5, v62 dst_sel:DWORD dst_unused:UNUSED_PAD src0_sel:WORD_1 src1_sel:DWORD
	v_fmamk_f16 v76, v30, 0xb9fd, v72
	v_mul_f16_e32 v77, 0x3770, v20
	v_add_f16_sdwa v38, v5, v38 dst_sel:DWORD dst_unused:UNUSED_PAD src0_sel:WORD_1 src1_sel:DWORD
	v_fma_f16 v39, v30, 0xb5ac, -v39
	v_add_f16_e32 v34, v58, v34
	v_fmamk_f16 v58, v37, 0xb9fd, v69
	v_add_f16_e32 v74, v5, v74
	v_fmamk_f16 v78, v45, 0xb94e, v75
	v_mul_f16_e32 v79, 0x3b15, v17
	v_add_f16_e32 v62, v76, v62
	v_fmamk_f16 v76, v32, 0x3b15, v77
	v_mul_f16_e32 v80, 0xbbf1, v22
	v_fma_f16 v55, v36, 0x2fb7, -v55
	v_fmac_f16_e32 v51, 0xbbf1, v43
	v_fmac_f16_e32 v42, 0xba95, v43
	v_add_f16_e32 v38, v39, v38
	v_fma_f16 v39, v32, 0xbbc4, -v40
	v_add_f16_e32 v34, v58, v34
	v_mul_f16_e32 v58, 0xb9fd, v27
	v_add_f16_e32 v74, v78, v74
	v_fmamk_f16 v78, v48, 0xb770, v79
	v_mul_f16_e32 v81, 0x2fb7, v19
	v_add_f16_e32 v62, v76, v62
	v_fmamk_f16 v76, v31, 0x2fb7, v80
	v_mul_f16_e32 v82, 0x33a8, v25
	v_add_f16_sdwa v55, v5, v55 dst_sel:DWORD dst_unused:UNUSED_PAD src0_sel:WORD_1 src1_sel:DWORD
	v_fma_f16 v59, v30, 0xbbc4, -v59
	v_add_f16_e32 v51, v5, v51
	v_fmac_f16_e32 v63, 0xb3a8, v45
	v_add_f16_e32 v40, v5, v42
	v_fmac_f16_e32 v44, 0xbb7b, v45
	v_add_f16_e32 v38, v39, v38
	v_fma_f16 v39, v31, 0xb9fd, -v41
	v_fmamk_f16 v73, v57, 0x394e, v58
	v_add_f16_e32 v74, v78, v74
	v_fmamk_f16 v78, v50, 0x3bf1, v81
	v_mul_f16_e32 v84, 0xbbc4, v26
	v_add_f16_e32 v62, v76, v62
	v_fmamk_f16 v76, v35, 0xbbc4, v82
	v_mul_f16_e32 v85, 0x3a95, v28
	v_add_f16_e32 v55, v59, v55
	v_fma_f16 v59, v32, 0xb5ac, -v60
	v_add_f16_e32 v51, v63, v51
	v_fmac_f16_e32 v66, 0x3b7b, v48
	v_add_f16_e32 v40, v44, v40
	v_fmac_f16_e32 v47, 0xb3a8, v48
	v_add_f16_e32 v38, v39, v38
	v_fma_f16 v39, v35, 0x2fb7, -v46
	v_mul_f16_e32 v44, 0xb770, v24
	v_add_f16_e32 v74, v78, v74
	v_fmamk_f16 v78, v54, 0xb3a8, v84
	v_mul_f16_e32 v88, 0x388b, v27
	v_add_f16_e32 v61, v73, v61
	v_add_f16_e32 v62, v76, v62
	v_fmamk_f16 v73, v37, 0x388b, v85
	v_mul_f16_e32 v91, 0xb9fd, v15
	v_add_f16_e32 v55, v59, v55
	v_fma_f16 v59, v31, 0x3b15, -v64
	v_add_f16_e32 v51, v66, v51
	v_fmac_f16_e32 v68, 0x3770, v50
	v_add_f16_e32 v40, v47, v40
	v_fmac_f16_e32 v49, 0x394e, v50
	v_add_f16_e32 v38, v39, v38
	v_fma_f16 v39, v36, 0x3b15, -v44
	v_mul_f16_e32 v46, 0xba95, v23
	v_add_f16_e32 v74, v78, v74
	v_fmamk_f16 v78, v57, 0xba95, v88
	v_add_f16_e32 v62, v73, v62
	v_fmamk_f16 v73, v43, 0x394e, v91
	v_mul_f16_e32 v93, 0x2fb7, v16
	v_fmac_f16_e32 v91, 0xb94e, v43
	v_fmac_f16_e32 v71, 0xbb7b, v43
	v_add_f16_e32 v55, v59, v55
	v_fma_f16 v59, v35, 0x388b, -v67
	v_add_f16_e32 v41, v68, v51
	v_fmac_f16_e32 v70, 0xba95, v54
	v_add_f16_e32 v40, v49, v40
	v_add_f16_sdwa v39, v5, v39 dst_sel:DWORD dst_unused:UNUSED_PAD src0_sel:WORD_1 src1_sel:DWORD
	v_fma_f16 v49, v30, 0x388b, -v46
	v_mul_f16_e32 v51, 0xbbf1, v20
	v_fmac_f16_e32 v53, 0x3bf1, v54
	v_mul_f16_e32 v43, 0xb770, v43
	v_add_f16_e32 v74, v78, v74
	v_add_f16_e32 v73, v5, v73
	v_fmamk_f16 v78, v45, 0xbbf1, v93
	v_mul_f16_e32 v94, 0x388b, v17
	v_fmac_f16_e32 v93, 0x3bf1, v45
	v_fmac_f16_e32 v75, 0x394e, v45
	v_add_f16_e32 v55, v59, v55
	v_fma_f16 v59, v37, 0xb9fd, -v69
	v_add_f16_e32 v41, v70, v41
	v_fmac_f16_e32 v58, 0xb94e, v57
	v_fma_f16 v47, v37, 0x3b15, -v52
	v_add_f16_e32 v39, v49, v39
	v_fma_f16 v49, v32, 0x2fb7, -v51
	v_mul_f16_e32 v52, 0xbb7b, v22
	v_add_f16_e32 v40, v53, v40
	v_fmamk_f16 v53, v15, 0x3b15, v43
	v_mul_f16_e32 v45, 0xba95, v45
	v_mul_f16_e32 v83, 0xb94e, v24
	v_add_f16_e32 v73, v78, v73
	v_fmamk_f16 v78, v48, 0x3a95, v94
	v_mul_f16_e32 v95, 0xbbc4, v19
	v_fmac_f16_e32 v94, 0xba95, v48
	v_fmac_f16_e32 v79, 0x3770, v48
	v_add_f16_e32 v42, v59, v55
	v_add_f16_e32 v41, v58, v41
	;; [unrolled: 1-line block ×3, first 2 shown]
	v_fma_f16 v49, v31, 0xb5ac, -v52
	v_mul_f16_e32 v55, 0xb94e, v25
	v_add_f16_e32 v53, v5, v53
	v_fmamk_f16 v58, v16, 0x388b, v45
	v_mul_f16_e32 v48, 0xbbf1, v48
	v_fmamk_f16 v86, v36, 0xb9fd, v83
	v_mul_f16_e32 v87, 0x3bf1, v23
	v_add_f16_e32 v73, v78, v73
	v_fmamk_f16 v78, v50, 0xb3a8, v95
	v_fmac_f16_e32 v95, 0x33a8, v50
	v_fmac_f16_e32 v81, 0xbbf1, v50
	v_add_f16_e32 v39, v49, v39
	v_fma_f16 v49, v35, 0xb9fd, -v55
	v_mul_f16_e32 v59, 0xb3a8, v28
	v_add_f16_e32 v53, v58, v53
	v_fmamk_f16 v58, v17, 0x2fb7, v48
	v_mul_f16_e32 v50, 0xbb7b, v50
	v_pk_add_f16 v21, v5, v21
	v_add_f16_sdwa v86, v5, v86 dst_sel:DWORD dst_unused:UNUSED_PAD src0_sel:WORD_1 src1_sel:DWORD
	v_fmamk_f16 v89, v30, 0x2fb7, v87
	v_mul_f16_e32 v90, 0xba95, v20
	v_add_f16_e32 v39, v49, v39
	v_fma_f16 v49, v37, 0xbbc4, -v59
	v_add_f16_e32 v53, v58, v53
	v_fmamk_f16 v58, v19, 0xb5ac, v50
	v_add_f16_e32 v38, v47, v38
	v_mul_f16_e32 v47, 0xb94e, v54
	v_pk_add_f16 v18, v21, v18
	v_add_f16_e32 v76, v89, v86
	v_fmamk_f16 v86, v32, 0x388b, v90
	v_mul_f16_e32 v89, 0x33a8, v22
	v_fma_f16 v83, v36, 0xb9fd, -v83
	v_fma_f16 v65, v36, 0xb5ac, -v65
	v_add_f16_e32 v39, v49, v39
	v_add_f16_e32 v49, v58, v53
	v_fmac_f16_e32 v44, 0x3b15, v36
	v_fmamk_f16 v36, v26, 0xb9fd, v47
	v_fma_f16 v43, v15, 0x3b15, -v43
	v_pk_add_f16 v14, v18, v14
	v_add_f16_e32 v76, v86, v76
	v_fmamk_f16 v86, v31, 0xbbc4, v89
	v_mul_f16_e32 v92, 0x3770, v25
	v_add_f16_sdwa v83, v5, v83 dst_sel:DWORD dst_unused:UNUSED_PAD src0_sel:WORD_1 src1_sel:DWORD
	v_fma_f16 v87, v30, 0x2fb7, -v87
	v_add_f16_sdwa v65, v5, v65 dst_sel:DWORD dst_unused:UNUSED_PAD src0_sel:WORD_1 src1_sel:DWORD
	v_fma_f16 v72, v30, 0xb9fd, -v72
	v_add_f16_e32 v21, v36, v49
	v_add_f16_e32 v36, v5, v43
	v_fma_f16 v43, v16, 0x388b, -v45
	v_pk_add_f16 v13, v14, v13
	v_add_f16_e32 v76, v86, v76
	v_fmamk_f16 v86, v35, 0x3b15, v92
	v_add_f16_e32 v83, v87, v83
	v_fma_f16 v87, v32, 0x388b, -v90
	v_add_f16_e32 v65, v72, v65
	v_fma_f16 v72, v32, 0x3b15, -v77
	v_fmac_f16_e32 v51, 0x2fb7, v32
	v_add_f16_e32 v32, v43, v36
	v_fma_f16 v36, v17, 0x2fb7, -v48
	v_pk_add_f16 v12, v13, v12
	v_add_f16_e32 v76, v86, v76
	v_mul_f16_e32 v86, 0xbb7b, v28
	v_add_f16_e32 v83, v87, v83
	v_fma_f16 v87, v31, 0xbbc4, -v89
	v_add_f16_e32 v65, v72, v65
	v_fma_f16 v72, v31, 0x2fb7, -v80
	v_fmac_f16_e32 v46, 0x388b, v30
	v_add_f16_sdwa v30, v5, v44 dst_sel:DWORD dst_unused:UNUSED_PAD src0_sel:WORD_1 src1_sel:DWORD
	v_fmac_f16_e32 v52, 0xb5ac, v31
	v_add_f16_e32 v31, v36, v32
	v_fma_f16 v13, v19, 0xb5ac, -v50
	v_pk_add_f16 v11, v12, v11
	v_fmamk_f16 v96, v37, 0xb5ac, v86
	v_add_f16_e32 v30, v46, v30
	v_mul_f16_e32 v18, 0xb3a8, v57
	v_add_f16_e32 v12, v13, v31
	v_fma_f16 v13, v26, 0xb9fd, -v47
	v_pk_add_f16 v10, v11, v10
	v_pk_mul_f16 v11, 0xb3a8, v24 op_sel_hi:[0,1]
	v_add_f16_e32 v76, v96, v76
	v_mul_f16_e32 v96, 0x3b15, v26
	v_add_f16_e32 v14, v51, v30
	v_fmamk_f16 v30, v27, 0xbbc4, v18
	v_add_f16_e32 v12, v13, v12
	v_fma_f16 v13, v27, 0xbbc4, -v18
	v_pk_add_f16 v9, v10, v9
	v_pk_fma_f16 v10, 0xbbc4, v15, v11 op_sel:[0,0,1] op_sel_hi:[0,1,0]
	v_pk_mul_f16 v18, 0x3770, v23 op_sel_hi:[0,1]
	v_pk_fma_f16 v11, 0xbbc4, v15, v11 op_sel:[0,0,1] op_sel_hi:[0,1,0] neg_lo:[0,0,1] neg_hi:[0,0,1]
	v_add_f16_e32 v71, v5, v71
	v_add_f16_e32 v73, v78, v73
	v_fmamk_f16 v78, v54, 0xb770, v96
	v_mul_f16_e32 v90, 0xb5ac, v27
	v_add_f16_e32 v89, v5, v91
	v_add_f16_e32 v12, v13, v12
	v_pk_add_f16 v8, v9, v8
	v_pk_add_f16 v9, v5, v10
	v_pk_fma_f16 v10, 0x3b15, v16, v18 op_sel:[0,0,1] op_sel_hi:[0,1,0]
	v_pk_mul_f16 v13, 0xb94e, v20 op_sel_hi:[0,1]
	v_pk_add_f16 v5, v5, v11
	v_pk_fma_f16 v11, 0x3b15, v16, v18 op_sel:[0,0,1] op_sel_hi:[0,1,0] neg_lo:[0,0,1] neg_hi:[0,0,1]
	v_add_f16_e32 v71, v75, v71
	v_add_f16_e32 v73, v78, v73
	v_fmamk_f16 v78, v57, 0x3b7b, v90
	v_add_f16_e32 v83, v87, v83
	v_fma_f16 v87, v35, 0x3b15, -v92
	v_add_f16_e32 v89, v93, v89
	v_pk_add_f16 v7, v8, v7
	v_pk_add_f16 v8, v10, v9
	v_pk_fma_f16 v9, 0xb9fd, v17, v13 op_sel:[0,0,1] op_sel_hi:[0,1,0]
	v_pk_mul_f16 v10, 0x3a95, v22 op_sel_hi:[0,1]
	v_pk_add_f16 v5, v11, v5
	v_pk_fma_f16 v11, 0xb9fd, v17, v13 op_sel:[0,0,1] op_sel_hi:[0,1,0] neg_lo:[0,0,1] neg_hi:[0,0,1]
	v_add_f16_e32 v65, v72, v65
	v_fma_f16 v72, v35, 0xbbc4, -v82
	v_add_f16_e32 v71, v79, v71
	v_add_f16_e32 v73, v78, v73
	;; [unrolled: 1-line block ×3, first 2 shown]
	v_fma_f16 v83, v37, 0xb5ac, -v86
	v_add_f16_e32 v86, v94, v89
	v_pk_add_f16 v6, v7, v6
	v_pk_add_f16 v7, v9, v8
	v_pk_fma_f16 v8, 0x388b, v19, v10 op_sel:[0,0,1] op_sel_hi:[0,1,0]
	v_pk_mul_f16 v9, 0xbb7b, v25 op_sel_hi:[0,1]
	v_pk_add_f16 v5, v11, v5
	v_pk_fma_f16 v10, 0x388b, v19, v10 op_sel:[0,0,1] op_sel_hi:[0,1,0] neg_lo:[0,0,1] neg_hi:[0,0,1]
	v_add_f16_e32 v65, v72, v65
	v_fma_f16 v72, v37, 0x388b, -v85
	v_add_f16_e32 v71, v81, v71
	v_fmac_f16_e32 v84, 0x33a8, v54
	v_add_f16_e32 v78, v83, v78
	v_add_f16_e32 v83, v95, v86
	v_fmac_f16_e32 v96, 0x3770, v54
	v_pk_add_f16 v7, v8, v7
	v_pk_fma_f16 v8, 0xb5ac, v26, v9 op_sel:[0,0,1] op_sel_hi:[0,1,0]
	v_pk_mul_f16 v13, 0x3bf1, v28 op_sel_hi:[0,1]
	v_pk_add_f16 v5, v10, v5
	v_pk_fma_f16 v9, 0xb5ac, v26, v9 op_sel:[0,0,1] op_sel_hi:[0,1,0] neg_lo:[0,0,1] neg_hi:[0,0,1]
	v_fmac_f16_e32 v56, 0x3770, v57
	v_add_f16_e32 v60, v72, v65
	v_add_f16_e32 v65, v84, v71
	v_fmac_f16_e32 v88, 0x3a95, v57
	v_add_f16_e32 v14, v52, v14
	v_fmac_f16_e32 v55, 0xb9fd, v35
	;; [unrolled: 2-line block ×3, first 2 shown]
	v_pk_add_f16 v7, v8, v7
	v_pk_fma_f16 v8, 0x2fb7, v27, v13 op_sel:[0,0,1] op_sel_hi:[0,1,0]
	v_pk_add_f16 v5, v9, v5
	v_pk_fma_f16 v9, 0x2fb7, v27, v13 op_sel:[0,0,1] op_sel_hi:[0,1,0] neg_lo:[0,0,1] neg_hi:[0,0,1]
	v_add_f16_e32 v40, v56, v40
	v_add_f16_e32 v21, v30, v21
	v_mul_u32_u24_e32 v11, 52, v0
	v_add_f16_e32 v64, v88, v65
	v_add_f16_e32 v14, v55, v14
	v_fmac_f16_e32 v59, 0xbbc4, v37
	v_add_f16_e32 v75, v90, v77
	v_pk_add_f16 v7, v8, v7
	v_pk_add_f16 v5, v9, v5
	v_add3_u32 v10, 0, v11, v1
	v_pack_b32_f16 v11, v40, v38
	v_pack_b32_f16 v13, v21, v39
	v_add_f16_e32 v14, v59, v14
	v_pack_b32_f16 v15, v64, v60
	v_pack_b32_f16 v16, v41, v42
	v_pk_add_f16 v4, v6, v4
	v_pack_b32_f16 v6, v75, v78
	v_bfi_b32 v8, 0xffff, v5, v7
	v_bfi_b32 v5, 0xffff, v7, v5
	v_pack_b32_f16 v7, v74, v62
	v_pack_b32_f16 v9, v73, v76
	ds_write2_b32 v10, v13, v11 offset0:1 offset1:2
	ds_write2_b32 v10, v16, v15 offset0:3 offset1:4
	v_pack_b32_f16 v11, v33, v29
	v_pack_b32_f16 v13, v61, v34
	;; [unrolled: 1-line block ×3, first 2 shown]
	ds_write2_b32 v10, v4, v6 offset1:5
	ds_write2_b32 v10, v5, v8 offset0:6 offset1:7
	ds_write2_b32 v10, v9, v7 offset0:8 offset1:9
	;; [unrolled: 1-line block ×3, first 2 shown]
	ds_write_b32 v10, v12 offset:48
.LBB0_13:
	s_or_b32 exec_lo, exec_lo, s1
	s_waitcnt vmcnt(0)
	v_add_nc_u32_e32 v4, -13, v0
	v_cmp_gt_u32_e64 s0, 13, v0
	v_add_nc_u32_e32 v6, 26, v0
	v_add_nc_u32_e32 v7, 52, v0
	v_mov_b32_e32 v5, 0
	s_waitcnt lgkmcnt(0)
	v_cndmask_b32_e64 v28, v4, v0, s0
	v_and_b32_e32 v8, 0xff, v6
	v_and_b32_e32 v10, 0xff, v7
	s_barrier
	buffer_gl0_inv
	v_mul_i32_i24_e32 v4, 3, v28
	v_mul_lo_u16 v11, 0x4f, v8
	v_mov_b32_e32 v36, 2
	v_lshlrev_b32_e32 v33, 2, v28
	v_lshlrev_b64 v[8:9], 2, v[4:5]
	v_mul_lo_u16 v4, 0x4f, v10
	v_lshrrev_b16 v29, 10, v11
	v_lshrrev_b16 v30, 10, v4
	v_add_co_u32 v8, s0, s8, v8
	v_add_co_ci_u32_e64 v9, s0, s9, v9, s0
	v_mul_lo_u16 v10, v29, 13
	v_mov_b32_e32 v4, 3
	v_cmp_lt_u32_e64 s0, 12, v0
	global_load_dwordx3 v[11:13], v[8:9], off
	v_mul_lo_u16 v8, v30, 13
	v_sub_nc_u16 v34, v6, v10
	v_and_b32_e32 v40, 0xffff, v30
	v_cndmask_b32_e64 v10, 0, 0xd0, s0
	v_and_b32_e32 v39, 0xffff, v29
	v_sub_nc_u16 v35, v7, v8
	v_mul_u32_u24_sdwa v9, v34, v4 dst_sel:DWORD dst_unused:UNUSED_PAD src0_sel:BYTE_0 src1_sel:DWORD
	v_mad_u32_u24 v40, 0xd0, v40, 0
	v_add_nc_u32_e32 v32, 0, v10
	v_mad_u32_u24 v39, 0xd0, v39, 0
	v_mul_u32_u24_sdwa v4, v35, v4 dst_sel:DWORD dst_unused:UNUSED_PAD src0_sel:BYTE_0 src1_sel:DWORD
	v_lshlrev_b32_e32 v8, 2, v9
	v_lshlrev_b32_sdwa v34, v36, v34 dst_sel:DWORD dst_unused:UNUSED_PAD src0_sel:DWORD src1_sel:BYTE_0
	v_lshlrev_b32_sdwa v35, v36, v35 dst_sel:DWORD dst_unused:UNUSED_PAD src0_sel:DWORD src1_sel:BYTE_0
	v_add3_u32 v41, v32, v33, v1
	v_lshlrev_b32_e32 v4, 2, v4
	global_load_dwordx3 v[14:16], v8, s[8:9]
	v_add3_u32 v34, v39, v34, v1
	global_load_dwordx3 v[17:19], v4, s[8:9]
	v_lshlrev_b32_e32 v4, 2, v0
	v_add3_u32 v8, 0, v4, v1
	v_add3_u32 v9, 0, v1, v4
	ds_read2_b32 v[20:21], v8 offset0:78 offset1:104
	ds_read2_b32 v[22:23], v8 offset0:130 offset1:156
	;; [unrolled: 1-line block ×3, first 2 shown]
	v_add_nc_u32_e32 v10, 0x200, v8
	ds_read_b32 v37, v9
	ds_read_b32 v38, v8 offset:1144
	v_lshlrev_b32_e32 v4, 1, v0
	ds_read2_b32 v[26:27], v8 offset0:26 offset1:52
	v_add3_u32 v1, v40, v35, v1
	ds_read2_b32 v[30:31], v10 offset0:106 offset1:132
	s_waitcnt vmcnt(0) lgkmcnt(0)
	v_lshlrev_b64 v[28:29], 2, v[4:5]
	v_lshlrev_b32_e32 v4, 1, v6
	s_barrier
	buffer_gl0_inv
	v_lshlrev_b64 v[32:33], 2, v[4:5]
	v_add_co_u32 v28, s0, s8, v28
	v_add_co_ci_u32_e64 v29, s0, s9, v29, s0
	v_lshrrev_b32_e32 v45, 16, v20
	v_lshrrev_b32_e32 v46, 16, v23
	;; [unrolled: 1-line block ×12, first 2 shown]
	v_add_co_u32 v32, s0, s8, v32
	v_add_co_ci_u32_e64 v33, s0, s9, v33, s0
	v_mul_f16_sdwa v35, v11, v45 dst_sel:DWORD dst_unused:UNUSED_PAD src0_sel:WORD_1 src1_sel:DWORD
	v_mul_f16_sdwa v39, v11, v20 dst_sel:DWORD dst_unused:UNUSED_PAD src0_sel:WORD_1 src1_sel:DWORD
	;; [unrolled: 1-line block ×6, first 2 shown]
	v_fmac_f16_e32 v35, v11, v20
	v_fma_f16 v11, v11, v45, -v39
	v_fmac_f16_e32 v40, v12, v23
	v_fma_f16 v12, v12, v46, -v52
	v_fmac_f16_e32 v53, v13, v30
	v_fma_f16 v13, v13, v51, -v54
	v_sub_f16_e32 v20, v37, v40
	v_sub_f16_e32 v12, v48, v12
	v_sub_f16_e32 v23, v35, v53
	v_sub_f16_e32 v13, v11, v13
	v_mul_f16_sdwa v30, v14, v47 dst_sel:DWORD dst_unused:UNUSED_PAD src0_sel:WORD_1 src1_sel:DWORD
	v_mul_f16_sdwa v39, v14, v21 dst_sel:DWORD dst_unused:UNUSED_PAD src0_sel:WORD_1 src1_sel:DWORD
	v_mul_f16_sdwa v40, v4, v15 dst_sel:DWORD dst_unused:UNUSED_PAD src0_sel:DWORD src1_sel:WORD_1
	v_mul_f16_sdwa v45, v24, v15 dst_sel:DWORD dst_unused:UNUSED_PAD src0_sel:DWORD src1_sel:WORD_1
	;; [unrolled: 1-line block ×10, first 2 shown]
	v_fma_f16 v37, v37, 2.0, -v20
	v_fma_f16 v48, v48, 2.0, -v12
	;; [unrolled: 1-line block ×4, first 2 shown]
	v_add_f16_e32 v13, v20, v13
	v_sub_f16_e32 v23, v12, v23
	v_fmac_f16_e32 v30, v14, v21
	v_fma_f16 v14, v14, v47, -v39
	v_fmac_f16_e32 v40, v24, v15
	v_fma_f16 v4, v4, v15, -v45
	;; [unrolled: 2-line block ×6, first 2 shown]
	v_sub_f16_e32 v19, v37, v35
	v_sub_f16_e32 v11, v48, v11
	v_fma_f16 v20, v20, 2.0, -v13
	v_fma_f16 v12, v12, 2.0, -v23
	v_sub_f16_e32 v21, v26, v40
	v_sub_f16_e32 v4, v49, v4
	;; [unrolled: 1-line block ×4, first 2 shown]
	v_pack_b32_f16 v13, v13, v23
	v_sub_f16_e32 v23, v27, v54
	v_sub_f16_e32 v17, v50, v17
	;; [unrolled: 1-line block ×4, first 2 shown]
	v_fma_f16 v25, v37, 2.0, -v19
	v_fma_f16 v31, v48, 2.0, -v11
	v_pack_b32_f16 v12, v20, v12
	v_pack_b32_f16 v11, v19, v11
	v_fma_f16 v19, v26, 2.0, -v21
	v_fma_f16 v20, v49, 2.0, -v4
	;; [unrolled: 1-line block ×4, first 2 shown]
	v_add_f16_e32 v15, v21, v15
	v_fma_f16 v27, v27, 2.0, -v23
	v_fma_f16 v30, v50, 2.0, -v17
	;; [unrolled: 1-line block ×4, first 2 shown]
	v_sub_f16_e32 v22, v4, v22
	ds_write2_b32 v41, v11, v13 offset0:26 offset1:39
	v_sub_f16_e32 v11, v19, v26
	v_sub_f16_e32 v13, v20, v14
	v_add_f16_e32 v18, v23, v18
	v_sub_f16_e32 v24, v17, v24
	v_fma_f16 v14, v21, 2.0, -v15
	v_sub_f16_e32 v21, v27, v35
	v_sub_f16_e32 v16, v30, v16
	v_fma_f16 v4, v4, 2.0, -v22
	v_fma_f16 v19, v19, 2.0, -v11
	;; [unrolled: 1-line block ×5, first 2 shown]
	v_pack_b32_f16 v15, v15, v22
	v_pack_b32_f16 v18, v18, v24
	v_fma_f16 v22, v27, 2.0, -v21
	v_fma_f16 v24, v30, 2.0, -v16
	v_pack_b32_f16 v25, v25, v31
	v_pack_b32_f16 v11, v11, v13
	;; [unrolled: 1-line block ×7, first 2 shown]
	ds_write2_b32 v41, v25, v12 offset1:13
	ds_write2_b32 v34, v11, v15 offset0:26 offset1:39
	ds_write2_b32 v34, v14, v4 offset1:13
	ds_write2_b32 v1, v17, v13 offset1:13
	ds_write2_b32 v1, v16, v18 offset0:26 offset1:39
	s_waitcnt lgkmcnt(0)
	s_barrier
	buffer_gl0_inv
	s_clause 0x1
	global_load_dwordx2 v[11:12], v[28:29], off offset:156
	global_load_dwordx2 v[13:14], v[32:33], off offset:156
	ds_read_b32 v1, v9
	ds_read2_b32 v[15:16], v8 offset0:26 offset1:52
	ds_read2_b32 v[17:18], v10 offset0:106 offset1:132
	;; [unrolled: 1-line block ×4, first 2 shown]
	ds_read_b32 v4, v8 offset:1144
	ds_read2_b32 v[23:24], v8 offset0:130 offset1:156
	s_waitcnt vmcnt(0) lgkmcnt(0)
	s_barrier
	buffer_gl0_inv
	v_add_nc_u32_e32 v25, 0x400, v8
	v_lshrrev_b32_e32 v26, 16, v1
	v_lshrrev_b32_e32 v27, 16, v15
	;; [unrolled: 1-line block ×12, first 2 shown]
	v_mul_f16_sdwa v38, v11, v33 dst_sel:DWORD dst_unused:UNUSED_PAD src0_sel:WORD_1 src1_sel:DWORD
	v_mul_f16_sdwa v39, v11, v20 dst_sel:DWORD dst_unused:UNUSED_PAD src0_sel:WORD_1 src1_sel:DWORD
	;; [unrolled: 1-line block ×10, first 2 shown]
	v_mul_f16_sdwa v48, v29, v12 dst_sel:DWORD dst_unused:UNUSED_PAD src0_sel:DWORD src1_sel:WORD_1
	v_mul_f16_sdwa v49, v18, v12 dst_sel:DWORD dst_unused:UNUSED_PAD src0_sel:DWORD src1_sel:WORD_1
	;; [unrolled: 1-line block ×6, first 2 shown]
	v_fmac_f16_e32 v38, v11, v20
	v_fma_f16 v20, v11, v33, -v39
	v_fmac_f16_e32 v40, v12, v22
	v_fma_f16 v22, v12, v34, -v41
	;; [unrolled: 2-line block ×8, first 2 shown]
	v_add_f16_e32 v18, v38, v40
	v_sub_f16_e32 v21, v20, v22
	v_add_f16_e32 v24, v26, v20
	v_add_f16_e32 v20, v20, v22
	;; [unrolled: 1-line block ×3, first 2 shown]
	v_sub_f16_e32 v33, v23, v17
	v_add_f16_e32 v34, v27, v23
	v_add_f16_e32 v23, v23, v17
	;; [unrolled: 1-line block ×4, first 2 shown]
	v_sub_f16_e32 v29, v38, v40
	v_add_f16_e32 v36, v16, v46
	v_add_f16_e32 v37, v46, v48
	v_sub_f16_e32 v38, v11, v12
	v_add_f16_e32 v39, v28, v11
	v_add_f16_e32 v11, v11, v12
	v_sub_f16_e32 v41, v46, v48
	v_add_f16_e32 v43, v50, v52
	v_sub_f16_e32 v45, v13, v4
	v_add_f16_e32 v46, v30, v13
	v_add_f16_e32 v13, v13, v4
	v_sub_f16_e32 v35, v42, v44
	v_add_f16_e32 v42, v19, v50
	v_fmac_f16_e32 v1, -0.5, v18
	v_fmac_f16_e32 v26, -0.5, v20
	v_fma_f16 v15, -0.5, v32, v15
	v_fmac_f16_e32 v27, -0.5, v23
	v_add_f16_e32 v14, v14, v40
	v_add_f16_e32 v18, v24, v22
	v_add_f16_e32 v20, v31, v44
	v_add_f16_e32 v17, v34, v17
	v_sub_f16_e32 v47, v50, v52
	v_fmac_f16_e32 v16, -0.5, v37
	v_fmac_f16_e32 v28, -0.5, v11
	;; [unrolled: 1-line block ×4, first 2 shown]
	v_add_f16_e32 v22, v36, v48
	v_add_f16_e32 v12, v39, v12
	;; [unrolled: 1-line block ×4, first 2 shown]
	v_fmamk_f16 v13, v21, 0xbaee, v1
	v_fmac_f16_e32 v1, 0x3aee, v21
	v_fmamk_f16 v21, v29, 0x3aee, v26
	v_fmamk_f16 v23, v33, 0xbaee, v15
	;; [unrolled: 1-line block ×3, first 2 shown]
	v_fmac_f16_e32 v26, 0xbaee, v29
	v_fmac_f16_e32 v15, 0x3aee, v33
	;; [unrolled: 1-line block ×3, first 2 shown]
	v_pack_b32_f16 v14, v14, v18
	v_pack_b32_f16 v17, v20, v17
	v_fmamk_f16 v29, v38, 0xbaee, v16
	v_fmamk_f16 v31, v41, 0x3aee, v28
	;; [unrolled: 1-line block ×4, first 2 shown]
	v_fmac_f16_e32 v16, 0x3aee, v38
	v_fmac_f16_e32 v28, 0xbaee, v41
	;; [unrolled: 1-line block ×4, first 2 shown]
	v_pack_b32_f16 v12, v22, v12
	v_pack_b32_f16 v4, v11, v4
	;; [unrolled: 1-line block ×5, first 2 shown]
	ds_write2_b32 v8, v14, v17 offset1:26
	v_pack_b32_f16 v14, v15, v27
	v_pack_b32_f16 v15, v29, v31
	;; [unrolled: 1-line block ×5, first 2 shown]
	ds_write2_b32 v8, v12, v4 offset0:156 offset1:182
	ds_write2_b32 v8, v11, v13 offset0:52 offset1:78
	;; [unrolled: 1-line block ×5, first 2 shown]
	s_waitcnt lgkmcnt(0)
	s_barrier
	buffer_gl0_inv
	s_and_saveexec_b32 s0, vcc_lo
	s_cbranch_execz .LBB0_15
; %bb.14:
	v_mov_b32_e32 v1, v5
	v_add_nc_u32_e32 v36, 0x9c, v0
	v_add_nc_u32_e32 v37, 0xb6, v0
	;; [unrolled: 1-line block ×4, first 2 shown]
	v_lshlrev_b64 v[4:5], 2, v[0:1]
	v_add_nc_u32_e32 v40, 0xea, v0
	v_mad_u64_u32 v[19:20], null, s2, v0, 0
	v_mad_u64_u32 v[21:22], null, s2, v7, 0
	v_add_co_u32 v4, vcc_lo, s8, v4
	v_add_co_ci_u32_e32 v5, vcc_lo, s9, v5, vcc_lo
	v_add_co_u32 v49, vcc_lo, s12, v2
	v_add_co_ci_u32_e32 v50, vcc_lo, s13, v3, vcc_lo
	s_clause 0x5
	global_load_dword v43, v[4:5], off offset:572
	global_load_dword v44, v[4:5], off offset:676
	;; [unrolled: 1-line block ×6, first 2 shown]
	ds_read2_b32 v[4:5], v8 offset0:130 offset1:156
	ds_read2_b32 v[11:12], v8 offset0:78 offset1:104
	;; [unrolled: 1-line block ×5, first 2 shown]
	v_add_nc_u32_e32 v3, 0x68, v0
	v_add_nc_u32_e32 v10, 0x82, v0
	v_mad_u64_u32 v[23:24], null, s2, v36, 0
	v_mad_u64_u32 v[1:2], null, s2, v6, 0
	;; [unrolled: 1-line block ×5, first 2 shown]
	v_lshrrev_b32_e32 v33, 2, v3
	v_lshrrev_b32_e32 v34, 2, v10
	v_mad_u64_u32 v[31:32], null, s2, v40, 0
	s_waitcnt lgkmcnt(4)
	v_mov_b32_e32 v51, v4
	v_mul_hi_u32 v41, 0x34834835, v33
	v_mul_hi_u32 v42, 0x34834835, v34
	v_mad_u64_u32 v[33:34], null, s3, v0, v[20:21]
	v_mov_b32_e32 v0, v24
	v_mad_u64_u32 v[34:35], null, s3, v6, v[2:3]
	v_mov_b32_e32 v2, v26
	;; [unrolled: 2-line block ×3, first 2 shown]
	v_mov_b32_e32 v20, v30
	v_mov_b32_e32 v22, v32
	v_mad_u64_u32 v[35:36], null, s3, v36, v[0:1]
	v_mad_u64_u32 v[36:37], null, s3, v37, v[2:3]
	;; [unrolled: 1-line block ×5, first 2 shown]
	v_lshrrev_b32_e32 v0, 3, v41
	v_lshrrev_b32_e32 v24, 3, v42
	v_mov_b32_e32 v22, v6
	v_mov_b32_e32 v20, v33
	;; [unrolled: 1-line block ×3, first 2 shown]
	v_mad_u64_u32 v[6:7], null, 0x9c, v0, v[3:4]
	s_waitcnt lgkmcnt(3)
	v_mad_u64_u32 v[33:34], null, 0x9c, v24, v[10:11]
	v_mov_b32_e32 v24, v35
	v_mov_b32_e32 v26, v36
	;; [unrolled: 1-line block ×5, first 2 shown]
	v_lshlrev_b64 v[0:1], 2, v[1:2]
	v_lshlrev_b64 v[2:3], 2, v[21:22]
	;; [unrolled: 1-line block ×7, first 2 shown]
	v_mad_u64_u32 v[31:32], null, s2, v6, 0
	v_add_nc_u32_e32 v41, 0x9c, v6
	v_lshlrev_b64 v[19:20], 2, v[19:20]
	v_mov_b32_e32 v53, v11
	v_mad_u64_u32 v[34:35], null, s2, v33, 0
	v_add_nc_u32_e32 v42, 0x9c, v33
	s_waitcnt lgkmcnt(1)
	v_mov_b32_e32 v55, v15
	v_mad_u64_u32 v[36:37], null, s2, v41, 0
	ds_read_u16_d16 v51, v8 offset:520
	ds_read_u16_d16 v53, v8 offset:312
	;; [unrolled: 1-line block ×3, first 2 shown]
	ds_read_b32 v56, v9
	ds_read_b32 v57, v8 offset:1144
	v_mov_b32_e32 v7, v32
	v_add_co_u32 v19, vcc_lo, v49, v19
	v_mad_u64_u32 v[38:39], null, s2, v42, 0
	v_add_co_ci_u32_e32 v20, vcc_lo, v50, v20, vcc_lo
	v_add_co_u32 v0, vcc_lo, v49, v0
	v_mov_b32_e32 v10, v35
	v_mad_u64_u32 v[6:7], null, s3, v6, v[7:8]
	v_add_co_ci_u32_e32 v1, vcc_lo, v50, v1, vcc_lo
	v_mov_b32_e32 v7, v37
	v_add_co_u32 v2, vcc_lo, v49, v2
	v_add_co_ci_u32_e32 v3, vcc_lo, v50, v3, vcc_lo
	v_mov_b32_e32 v32, v39
	v_mad_u64_u32 v[39:40], null, s3, v33, v[10:11]
	v_add_co_u32 v21, vcc_lo, v49, v21
	v_mad_u64_u32 v[40:41], null, s3, v41, v[7:8]
	v_add_co_ci_u32_e32 v22, vcc_lo, v50, v22, vcc_lo
	v_add_co_u32 v23, vcc_lo, v49, v23
	v_mad_u64_u32 v[41:42], null, s3, v42, v[32:33]
	v_add_co_ci_u32_e32 v24, vcc_lo, v50, v24, vcc_lo
	v_add_co_u32 v25, vcc_lo, v49, v25
	v_mov_b32_e32 v52, v12
	v_mov_b32_e32 v35, v39
	v_mov_b32_e32 v54, v16
	v_add_co_ci_u32_e32 v26, vcc_lo, v50, v26, vcc_lo
	v_add_co_u32 v27, vcc_lo, v49, v27
	v_mov_b32_e32 v32, v6
	s_waitcnt lgkmcnt(1)
	v_mov_b32_e32 v10, v56
	v_mov_b32_e32 v37, v40
	v_add_co_ci_u32_e32 v28, vcc_lo, v50, v28, vcc_lo
	v_add_co_u32 v6, vcc_lo, v49, v29
	v_mov_b32_e32 v39, v41
	ds_read_u16_d16 v52, v8 offset:416
	ds_read_u16_d16 v54, v8 offset:208
	ds_read_u16_d16 v10, v9
	v_lshlrev_b64 v[8:9], 2, v[34:35]
	v_add_co_ci_u32_e32 v7, vcc_lo, v50, v30, vcc_lo
	v_lshlrev_b64 v[29:30], 2, v[31:32]
	v_lshlrev_b64 v[31:32], 2, v[36:37]
	;; [unrolled: 1-line block ×3, first 2 shown]
	v_add_co_u32 v29, vcc_lo, v49, v29
	v_add_co_ci_u32_e32 v30, vcc_lo, v50, v30, vcc_lo
	v_add_co_u32 v8, vcc_lo, v49, v8
	v_add_co_ci_u32_e32 v9, vcc_lo, v50, v9, vcc_lo
	;; [unrolled: 2-line block ×4, first 2 shown]
	s_waitcnt vmcnt(5)
	v_pk_mul_f16 v35, v43, v5 op_sel:[0,1]
	s_waitcnt vmcnt(4)
	v_pk_mul_f16 v36, v44, v17 op_sel:[0,1]
	;; [unrolled: 2-line block ×5, first 2 shown]
	s_waitcnt vmcnt(0) lgkmcnt(3)
	v_pk_mul_f16 v40, v57, v48 op_sel:[0,1]
	v_pk_fma_f16 v41, v43, v5, v35 op_sel:[0,0,1] op_sel_hi:[1,1,0]
	v_pk_fma_f16 v5, v43, v5, v35 op_sel:[0,0,1] op_sel_hi:[1,0,0] neg_lo:[1,0,0] neg_hi:[1,0,0]
	v_pk_fma_f16 v35, v44, v17, v36 op_sel:[0,0,1] op_sel_hi:[1,1,0]
	v_pk_fma_f16 v17, v44, v17, v36 op_sel:[0,0,1] op_sel_hi:[1,0,0] neg_lo:[1,0,0] neg_hi:[1,0,0]
	;; [unrolled: 2-line block ×6, first 2 shown]
	v_bfi_b32 v5, 0xffff, v41, v5
	v_bfi_b32 v17, 0xffff, v35, v17
	v_bfi_b32 v18, 0xffff, v36, v18
	v_bfi_b32 v13, 0xffff, v37, v13
	v_bfi_b32 v14, 0xffff, v38, v14
	v_bfi_b32 v35, 0xffff, v39, v40
	v_pk_add_f16 v5, v56, v5 neg_lo:[0,1] neg_hi:[0,1]
	v_pk_add_f16 v15, v15, v17 neg_lo:[0,1] neg_hi:[0,1]
	v_pk_add_f16 v16, v16, v18 neg_lo:[0,1] neg_hi:[0,1]
	v_pk_add_f16 v11, v11, v13 neg_lo:[0,1] neg_hi:[0,1]
	v_pk_add_f16 v12, v12, v14 neg_lo:[0,1] neg_hi:[0,1]
	v_pk_add_f16 v4, v4, v35 neg_lo:[0,1] neg_hi:[0,1]
	s_waitcnt lgkmcnt(0)
	v_pk_fma_f16 v10, v10, 2.0, v5 op_sel_hi:[1,0,1] neg_lo:[0,0,1] neg_hi:[0,0,1]
	v_pk_fma_f16 v13, v55, 2.0, v15 op_sel_hi:[1,0,1] neg_lo:[0,0,1] neg_hi:[0,0,1]
	;; [unrolled: 1-line block ×6, first 2 shown]
	global_store_dword v[19:20], v10, off
	global_store_dword v[21:22], v5, off
	global_store_dword v[0:1], v13, off
	global_store_dword v[23:24], v15, off
	global_store_dword v[2:3], v14, off
	global_store_dword v[25:26], v16, off
	global_store_dword v[27:28], v17, off
	global_store_dword v[6:7], v11, off
	global_store_dword v[29:30], v18, off
	global_store_dword v[31:32], v12, off
	global_store_dword v[8:9], v35, off
	global_store_dword v[33:34], v4, off
.LBB0_15:
	s_endpgm
	.section	.rodata,"a",@progbits
	.p2align	6, 0x0
	.amdhsa_kernel fft_rtc_back_len312_factors_13_4_3_2_wgs_52_tpt_26_half_ip_CI_sbrr_dirReg
		.amdhsa_group_segment_fixed_size 0
		.amdhsa_private_segment_fixed_size 0
		.amdhsa_kernarg_size 88
		.amdhsa_user_sgpr_count 6
		.amdhsa_user_sgpr_private_segment_buffer 1
		.amdhsa_user_sgpr_dispatch_ptr 0
		.amdhsa_user_sgpr_queue_ptr 0
		.amdhsa_user_sgpr_kernarg_segment_ptr 1
		.amdhsa_user_sgpr_dispatch_id 0
		.amdhsa_user_sgpr_flat_scratch_init 0
		.amdhsa_user_sgpr_private_segment_size 0
		.amdhsa_wavefront_size32 1
		.amdhsa_uses_dynamic_stack 0
		.amdhsa_system_sgpr_private_segment_wavefront_offset 0
		.amdhsa_system_sgpr_workgroup_id_x 1
		.amdhsa_system_sgpr_workgroup_id_y 0
		.amdhsa_system_sgpr_workgroup_id_z 0
		.amdhsa_system_sgpr_workgroup_info 0
		.amdhsa_system_vgpr_workitem_id 0
		.amdhsa_next_free_vgpr 97
		.amdhsa_next_free_sgpr 23
		.amdhsa_reserve_vcc 1
		.amdhsa_reserve_flat_scratch 0
		.amdhsa_float_round_mode_32 0
		.amdhsa_float_round_mode_16_64 0
		.amdhsa_float_denorm_mode_32 3
		.amdhsa_float_denorm_mode_16_64 3
		.amdhsa_dx10_clamp 1
		.amdhsa_ieee_mode 1
		.amdhsa_fp16_overflow 0
		.amdhsa_workgroup_processor_mode 1
		.amdhsa_memory_ordered 1
		.amdhsa_forward_progress 0
		.amdhsa_shared_vgpr_count 0
		.amdhsa_exception_fp_ieee_invalid_op 0
		.amdhsa_exception_fp_denorm_src 0
		.amdhsa_exception_fp_ieee_div_zero 0
		.amdhsa_exception_fp_ieee_overflow 0
		.amdhsa_exception_fp_ieee_underflow 0
		.amdhsa_exception_fp_ieee_inexact 0
		.amdhsa_exception_int_div_zero 0
	.end_amdhsa_kernel
	.text
.Lfunc_end0:
	.size	fft_rtc_back_len312_factors_13_4_3_2_wgs_52_tpt_26_half_ip_CI_sbrr_dirReg, .Lfunc_end0-fft_rtc_back_len312_factors_13_4_3_2_wgs_52_tpt_26_half_ip_CI_sbrr_dirReg
                                        ; -- End function
	.section	.AMDGPU.csdata,"",@progbits
; Kernel info:
; codeLenInByte = 8260
; NumSgprs: 25
; NumVgprs: 97
; ScratchSize: 0
; MemoryBound: 0
; FloatMode: 240
; IeeeMode: 1
; LDSByteSize: 0 bytes/workgroup (compile time only)
; SGPRBlocks: 3
; VGPRBlocks: 12
; NumSGPRsForWavesPerEU: 25
; NumVGPRsForWavesPerEU: 97
; Occupancy: 9
; WaveLimiterHint : 1
; COMPUTE_PGM_RSRC2:SCRATCH_EN: 0
; COMPUTE_PGM_RSRC2:USER_SGPR: 6
; COMPUTE_PGM_RSRC2:TRAP_HANDLER: 0
; COMPUTE_PGM_RSRC2:TGID_X_EN: 1
; COMPUTE_PGM_RSRC2:TGID_Y_EN: 0
; COMPUTE_PGM_RSRC2:TGID_Z_EN: 0
; COMPUTE_PGM_RSRC2:TIDIG_COMP_CNT: 0
	.text
	.p2alignl 6, 3214868480
	.fill 48, 4, 3214868480
	.type	__hip_cuid_bf336d2ac344a6f3,@object ; @__hip_cuid_bf336d2ac344a6f3
	.section	.bss,"aw",@nobits
	.globl	__hip_cuid_bf336d2ac344a6f3
__hip_cuid_bf336d2ac344a6f3:
	.byte	0                               ; 0x0
	.size	__hip_cuid_bf336d2ac344a6f3, 1

	.ident	"AMD clang version 19.0.0git (https://github.com/RadeonOpenCompute/llvm-project roc-6.4.0 25133 c7fe45cf4b819c5991fe208aaa96edf142730f1d)"
	.section	".note.GNU-stack","",@progbits
	.addrsig
	.addrsig_sym __hip_cuid_bf336d2ac344a6f3
	.amdgpu_metadata
---
amdhsa.kernels:
  - .args:
      - .actual_access:  read_only
        .address_space:  global
        .offset:         0
        .size:           8
        .value_kind:     global_buffer
      - .offset:         8
        .size:           8
        .value_kind:     by_value
      - .actual_access:  read_only
        .address_space:  global
        .offset:         16
        .size:           8
        .value_kind:     global_buffer
      - .actual_access:  read_only
        .address_space:  global
        .offset:         24
        .size:           8
        .value_kind:     global_buffer
      - .offset:         32
        .size:           8
        .value_kind:     by_value
      - .actual_access:  read_only
        .address_space:  global
        .offset:         40
        .size:           8
        .value_kind:     global_buffer
      - .actual_access:  read_only
        .address_space:  global
        .offset:         48
        .size:           8
        .value_kind:     global_buffer
      - .offset:         56
        .size:           4
        .value_kind:     by_value
      - .actual_access:  read_only
        .address_space:  global
        .offset:         64
        .size:           8
        .value_kind:     global_buffer
      - .actual_access:  read_only
        .address_space:  global
        .offset:         72
        .size:           8
        .value_kind:     global_buffer
      - .address_space:  global
        .offset:         80
        .size:           8
        .value_kind:     global_buffer
    .group_segment_fixed_size: 0
    .kernarg_segment_align: 8
    .kernarg_segment_size: 88
    .language:       OpenCL C
    .language_version:
      - 2
      - 0
    .max_flat_workgroup_size: 52
    .name:           fft_rtc_back_len312_factors_13_4_3_2_wgs_52_tpt_26_half_ip_CI_sbrr_dirReg
    .private_segment_fixed_size: 0
    .sgpr_count:     25
    .sgpr_spill_count: 0
    .symbol:         fft_rtc_back_len312_factors_13_4_3_2_wgs_52_tpt_26_half_ip_CI_sbrr_dirReg.kd
    .uniform_work_group_size: 1
    .uses_dynamic_stack: false
    .vgpr_count:     97
    .vgpr_spill_count: 0
    .wavefront_size: 32
    .workgroup_processor_mode: 1
amdhsa.target:   amdgcn-amd-amdhsa--gfx1030
amdhsa.version:
  - 1
  - 2
...

	.end_amdgpu_metadata
